;; amdgpu-corpus repo=ROCm/rocFFT kind=compiled arch=gfx906 opt=O3
	.text
	.amdgcn_target "amdgcn-amd-amdhsa--gfx906"
	.amdhsa_code_object_version 6
	.protected	fft_rtc_back_len1215_factors_5_3_3_3_3_3_wgs_243_tpt_243_halfLds_dp_op_CI_CI_sbrr_dirReg ; -- Begin function fft_rtc_back_len1215_factors_5_3_3_3_3_3_wgs_243_tpt_243_halfLds_dp_op_CI_CI_sbrr_dirReg
	.globl	fft_rtc_back_len1215_factors_5_3_3_3_3_3_wgs_243_tpt_243_halfLds_dp_op_CI_CI_sbrr_dirReg
	.p2align	8
	.type	fft_rtc_back_len1215_factors_5_3_3_3_3_3_wgs_243_tpt_243_halfLds_dp_op_CI_CI_sbrr_dirReg,@function
fft_rtc_back_len1215_factors_5_3_3_3_3_3_wgs_243_tpt_243_halfLds_dp_op_CI_CI_sbrr_dirReg: ; @fft_rtc_back_len1215_factors_5_3_3_3_3_3_wgs_243_tpt_243_halfLds_dp_op_CI_CI_sbrr_dirReg
; %bb.0:
	s_load_dwordx4 s[16:19], s[4:5], 0x18
	s_load_dwordx4 s[8:11], s[4:5], 0x0
	;; [unrolled: 1-line block ×3, first 2 shown]
	v_mul_u32_u24_e32 v1, 0x10e, v0
	v_add_u32_sdwa v6, s6, v1 dst_sel:DWORD dst_unused:UNUSED_PAD src0_sel:DWORD src1_sel:WORD_1
	s_waitcnt lgkmcnt(0)
	s_load_dwordx2 s[2:3], s[16:17], 0x0
	s_load_dwordx2 s[20:21], s[18:19], 0x0
	v_cmp_lt_u64_e64 s[0:1], s[10:11], 2
	v_mov_b32_e32 v1, 0
	v_mov_b32_e32 v4, 0
	;; [unrolled: 1-line block ×3, first 2 shown]
	s_and_b64 vcc, exec, s[0:1]
	v_mov_b32_e32 v5, 0
	s_cbranch_vccnz .LBB0_8
; %bb.1:
	s_load_dwordx2 s[0:1], s[4:5], 0x10
	s_add_u32 s6, s18, 8
	s_addc_u32 s7, s19, 0
	s_add_u32 s22, s16, 8
	v_mov_b32_e32 v4, 0
	s_addc_u32 s23, s17, 0
	v_mov_b32_e32 v5, 0
	s_waitcnt lgkmcnt(0)
	s_add_u32 s24, s0, 8
	v_mov_b32_e32 v21, v5
	s_addc_u32 s25, s1, 0
	s_mov_b64 s[26:27], 1
	v_mov_b32_e32 v20, v4
.LBB0_2:                                ; =>This Inner Loop Header: Depth=1
	s_load_dwordx2 s[28:29], s[24:25], 0x0
                                        ; implicit-def: $vgpr22_vgpr23
	s_waitcnt lgkmcnt(0)
	v_or_b32_e32 v2, s29, v7
	v_cmp_ne_u64_e32 vcc, 0, v[1:2]
	s_and_saveexec_b64 s[0:1], vcc
	s_xor_b64 s[30:31], exec, s[0:1]
	s_cbranch_execz .LBB0_4
; %bb.3:                                ;   in Loop: Header=BB0_2 Depth=1
	v_cvt_f32_u32_e32 v2, s28
	v_cvt_f32_u32_e32 v3, s29
	s_sub_u32 s0, 0, s28
	s_subb_u32 s1, 0, s29
	v_mac_f32_e32 v2, 0x4f800000, v3
	v_rcp_f32_e32 v2, v2
	v_mul_f32_e32 v2, 0x5f7ffffc, v2
	v_mul_f32_e32 v3, 0x2f800000, v2
	v_trunc_f32_e32 v3, v3
	v_mac_f32_e32 v2, 0xcf800000, v3
	v_cvt_u32_f32_e32 v3, v3
	v_cvt_u32_f32_e32 v2, v2
	v_mul_lo_u32 v8, s0, v3
	v_mul_hi_u32 v9, s0, v2
	v_mul_lo_u32 v11, s1, v2
	v_mul_lo_u32 v10, s0, v2
	v_add_u32_e32 v8, v9, v8
	v_add_u32_e32 v8, v8, v11
	v_mul_hi_u32 v9, v2, v10
	v_mul_lo_u32 v11, v2, v8
	v_mul_hi_u32 v13, v2, v8
	v_mul_hi_u32 v12, v3, v10
	v_mul_lo_u32 v10, v3, v10
	v_mul_hi_u32 v14, v3, v8
	v_add_co_u32_e32 v9, vcc, v9, v11
	v_addc_co_u32_e32 v11, vcc, 0, v13, vcc
	v_mul_lo_u32 v8, v3, v8
	v_add_co_u32_e32 v9, vcc, v9, v10
	v_addc_co_u32_e32 v9, vcc, v11, v12, vcc
	v_addc_co_u32_e32 v10, vcc, 0, v14, vcc
	v_add_co_u32_e32 v8, vcc, v9, v8
	v_addc_co_u32_e32 v9, vcc, 0, v10, vcc
	v_add_co_u32_e32 v2, vcc, v2, v8
	v_addc_co_u32_e32 v3, vcc, v3, v9, vcc
	v_mul_lo_u32 v8, s0, v3
	v_mul_hi_u32 v9, s0, v2
	v_mul_lo_u32 v10, s1, v2
	v_mul_lo_u32 v11, s0, v2
	v_add_u32_e32 v8, v9, v8
	v_add_u32_e32 v8, v8, v10
	v_mul_lo_u32 v12, v2, v8
	v_mul_hi_u32 v13, v2, v11
	v_mul_hi_u32 v14, v2, v8
	;; [unrolled: 1-line block ×3, first 2 shown]
	v_mul_lo_u32 v11, v3, v11
	v_mul_hi_u32 v9, v3, v8
	v_add_co_u32_e32 v12, vcc, v13, v12
	v_addc_co_u32_e32 v13, vcc, 0, v14, vcc
	v_mul_lo_u32 v8, v3, v8
	v_add_co_u32_e32 v11, vcc, v12, v11
	v_addc_co_u32_e32 v10, vcc, v13, v10, vcc
	v_addc_co_u32_e32 v9, vcc, 0, v9, vcc
	v_add_co_u32_e32 v8, vcc, v10, v8
	v_addc_co_u32_e32 v9, vcc, 0, v9, vcc
	v_add_co_u32_e32 v8, vcc, v2, v8
	v_addc_co_u32_e32 v9, vcc, v3, v9, vcc
	v_mad_u64_u32 v[2:3], s[0:1], v6, v9, 0
	v_mul_hi_u32 v10, v6, v8
	v_add_co_u32_e32 v10, vcc, v10, v2
	v_addc_co_u32_e32 v11, vcc, 0, v3, vcc
	v_mad_u64_u32 v[2:3], s[0:1], v7, v8, 0
	v_mad_u64_u32 v[8:9], s[0:1], v7, v9, 0
	v_add_co_u32_e32 v2, vcc, v10, v2
	v_addc_co_u32_e32 v2, vcc, v11, v3, vcc
	v_addc_co_u32_e32 v3, vcc, 0, v9, vcc
	v_add_co_u32_e32 v8, vcc, v2, v8
	v_addc_co_u32_e32 v9, vcc, 0, v3, vcc
	v_mul_lo_u32 v10, s29, v8
	v_mul_lo_u32 v11, s28, v9
	v_mad_u64_u32 v[2:3], s[0:1], s28, v8, 0
	v_add3_u32 v3, v3, v11, v10
	v_sub_u32_e32 v10, v7, v3
	v_mov_b32_e32 v11, s29
	v_sub_co_u32_e32 v2, vcc, v6, v2
	v_subb_co_u32_e64 v10, s[0:1], v10, v11, vcc
	v_subrev_co_u32_e64 v11, s[0:1], s28, v2
	v_subbrev_co_u32_e64 v10, s[0:1], 0, v10, s[0:1]
	v_cmp_le_u32_e64 s[0:1], s29, v10
	v_cndmask_b32_e64 v12, 0, -1, s[0:1]
	v_cmp_le_u32_e64 s[0:1], s28, v11
	v_cndmask_b32_e64 v11, 0, -1, s[0:1]
	v_cmp_eq_u32_e64 s[0:1], s29, v10
	v_cndmask_b32_e64 v10, v12, v11, s[0:1]
	v_add_co_u32_e64 v11, s[0:1], 2, v8
	v_addc_co_u32_e64 v12, s[0:1], 0, v9, s[0:1]
	v_add_co_u32_e64 v13, s[0:1], 1, v8
	v_addc_co_u32_e64 v14, s[0:1], 0, v9, s[0:1]
	v_subb_co_u32_e32 v3, vcc, v7, v3, vcc
	v_cmp_ne_u32_e64 s[0:1], 0, v10
	v_cmp_le_u32_e32 vcc, s29, v3
	v_cndmask_b32_e64 v10, v14, v12, s[0:1]
	v_cndmask_b32_e64 v12, 0, -1, vcc
	v_cmp_le_u32_e32 vcc, s28, v2
	v_cndmask_b32_e64 v2, 0, -1, vcc
	v_cmp_eq_u32_e32 vcc, s29, v3
	v_cndmask_b32_e32 v2, v12, v2, vcc
	v_cmp_ne_u32_e32 vcc, 0, v2
	v_cndmask_b32_e64 v2, v13, v11, s[0:1]
	v_cndmask_b32_e32 v23, v9, v10, vcc
	v_cndmask_b32_e32 v22, v8, v2, vcc
.LBB0_4:                                ;   in Loop: Header=BB0_2 Depth=1
	s_andn2_saveexec_b64 s[0:1], s[30:31]
	s_cbranch_execz .LBB0_6
; %bb.5:                                ;   in Loop: Header=BB0_2 Depth=1
	v_cvt_f32_u32_e32 v2, s28
	s_sub_i32 s30, 0, s28
	v_mov_b32_e32 v23, v1
	v_rcp_iflag_f32_e32 v2, v2
	v_mul_f32_e32 v2, 0x4f7ffffe, v2
	v_cvt_u32_f32_e32 v2, v2
	v_mul_lo_u32 v3, s30, v2
	v_mul_hi_u32 v3, v2, v3
	v_add_u32_e32 v2, v2, v3
	v_mul_hi_u32 v2, v6, v2
	v_mul_lo_u32 v3, v2, s28
	v_add_u32_e32 v8, 1, v2
	v_sub_u32_e32 v3, v6, v3
	v_subrev_u32_e32 v9, s28, v3
	v_cmp_le_u32_e32 vcc, s28, v3
	v_cndmask_b32_e32 v3, v3, v9, vcc
	v_cndmask_b32_e32 v2, v2, v8, vcc
	v_add_u32_e32 v8, 1, v2
	v_cmp_le_u32_e32 vcc, s28, v3
	v_cndmask_b32_e32 v22, v2, v8, vcc
.LBB0_6:                                ;   in Loop: Header=BB0_2 Depth=1
	s_or_b64 exec, exec, s[0:1]
	v_mul_lo_u32 v8, v23, s28
	v_mul_lo_u32 v9, v22, s29
	v_mad_u64_u32 v[2:3], s[0:1], v22, s28, 0
	s_load_dwordx2 s[0:1], s[22:23], 0x0
	s_load_dwordx2 s[28:29], s[6:7], 0x0
	v_add3_u32 v3, v3, v9, v8
	v_sub_co_u32_e32 v2, vcc, v6, v2
	v_subb_co_u32_e32 v3, vcc, v7, v3, vcc
	s_waitcnt lgkmcnt(0)
	v_mul_lo_u32 v6, s0, v3
	v_mul_lo_u32 v7, s1, v2
	v_mad_u64_u32 v[4:5], s[0:1], s0, v2, v[4:5]
	v_mul_lo_u32 v3, s28, v3
	v_mul_lo_u32 v8, s29, v2
	v_mad_u64_u32 v[20:21], s[0:1], s28, v2, v[20:21]
	s_add_u32 s26, s26, 1
	s_addc_u32 s27, s27, 0
	s_add_u32 s6, s6, 8
	v_add3_u32 v21, v8, v21, v3
	s_addc_u32 s7, s7, 0
	v_mov_b32_e32 v2, s10
	s_add_u32 s22, s22, 8
	v_mov_b32_e32 v3, s11
	s_addc_u32 s23, s23, 0
	v_cmp_ge_u64_e32 vcc, s[26:27], v[2:3]
	s_add_u32 s24, s24, 8
	v_add3_u32 v5, v7, v5, v6
	s_addc_u32 s25, s25, 0
	s_cbranch_vccnz .LBB0_9
; %bb.7:                                ;   in Loop: Header=BB0_2 Depth=1
	v_mov_b32_e32 v6, v22
	v_mov_b32_e32 v7, v23
	s_branch .LBB0_2
.LBB0_8:
	v_mov_b32_e32 v21, v5
	v_mov_b32_e32 v23, v7
	;; [unrolled: 1-line block ×4, first 2 shown]
.LBB0_9:
	s_load_dwordx2 s[0:1], s[4:5], 0x28
	s_lshl_b64 s[10:11], s[10:11], 3
	s_add_u32 s4, s18, s10
	s_addc_u32 s5, s19, s11
                                        ; implicit-def: $vgpr40
                                        ; implicit-def: $vgpr41
	s_waitcnt lgkmcnt(0)
	v_cmp_gt_u64_e32 vcc, s[0:1], v[22:23]
	v_cmp_le_u64_e64 s[0:1], s[0:1], v[22:23]
	s_and_saveexec_b64 s[6:7], s[0:1]
	s_xor_b64 s[0:1], exec, s[6:7]
; %bb.10:
	s_mov_b32 s6, 0x10db20b
	v_mul_hi_u32 v1, v0, s6
                                        ; implicit-def: $vgpr4_vgpr5
	v_mul_u32_u24_e32 v1, 0xf3, v1
	v_sub_u32_e32 v40, v0, v1
	v_add_u32_e32 v41, 0xf3, v40
                                        ; implicit-def: $vgpr0
; %bb.11:
	s_or_saveexec_b64 s[6:7], s[0:1]
                                        ; implicit-def: $vgpr2_vgpr3
                                        ; implicit-def: $vgpr6_vgpr7
                                        ; implicit-def: $vgpr10_vgpr11
                                        ; implicit-def: $vgpr14_vgpr15
                                        ; implicit-def: $vgpr18_vgpr19
	s_xor_b64 exec, exec, s[6:7]
	s_cbranch_execz .LBB0_13
; %bb.12:
	s_add_u32 s0, s16, s10
	s_mov_b32 s10, 0x10db20b
	s_addc_u32 s1, s17, s11
	v_mul_hi_u32 v1, v0, s10
	s_load_dwordx2 s[0:1], s[0:1], 0x0
	v_mul_u32_u24_e32 v1, 0xf3, v1
	v_sub_u32_e32 v40, v0, v1
	s_waitcnt lgkmcnt(0)
	v_mul_lo_u32 v8, s1, v22
	v_mad_u64_u32 v[0:1], s[10:11], s2, v40, 0
	v_mul_lo_u32 v9, s0, v23
	v_mad_u64_u32 v[2:3], s[0:1], s0, v22, 0
	v_add_u32_e32 v41, 0xf3, v40
	v_mad_u64_u32 v[6:7], s[0:1], s3, v40, v[1:2]
	v_add3_u32 v3, v3, v9, v8
	v_lshlrev_b64 v[2:3], 4, v[2:3]
	v_mov_b32_e32 v1, v6
	v_mov_b32_e32 v6, s13
	v_add_co_u32_e64 v7, s[0:1], s12, v2
	v_addc_co_u32_e64 v6, s[0:1], v6, v3, s[0:1]
	v_lshlrev_b64 v[2:3], 4, v[4:5]
	v_mad_u64_u32 v[4:5], s[0:1], s2, v41, 0
	v_add_co_u32_e64 v8, s[0:1], v7, v2
	v_mov_b32_e32 v2, v5
	v_addc_co_u32_e64 v9, s[0:1], v6, v3, s[0:1]
	v_mad_u64_u32 v[2:3], s[0:1], s3, v41, v[2:3]
	v_add_u32_e32 v3, 0x1e6, v40
	v_mad_u64_u32 v[6:7], s[0:1], s2, v3, 0
	v_lshlrev_b64 v[0:1], 4, v[0:1]
	v_mov_b32_e32 v5, v2
	v_add_co_u32_e64 v24, s[0:1], v8, v0
	v_mov_b32_e32 v2, v7
	v_addc_co_u32_e64 v25, s[0:1], v9, v1, s[0:1]
	v_lshlrev_b64 v[0:1], 4, v[4:5]
	v_mad_u64_u32 v[2:3], s[0:1], s3, v3, v[2:3]
	v_add_u32_e32 v5, 0x2d9, v40
	v_mad_u64_u32 v[3:4], s[0:1], s2, v5, 0
	v_add_co_u32_e64 v26, s[0:1], v8, v0
	v_mov_b32_e32 v7, v2
	v_mov_b32_e32 v2, v4
	v_addc_co_u32_e64 v27, s[0:1], v9, v1, s[0:1]
	v_lshlrev_b64 v[0:1], 4, v[6:7]
	v_mad_u64_u32 v[4:5], s[0:1], s3, v5, v[2:3]
	v_add_u32_e32 v7, 0x3cc, v40
	v_mad_u64_u32 v[5:6], s[0:1], s2, v7, 0
	v_add_co_u32_e64 v28, s[0:1], v8, v0
	v_mov_b32_e32 v2, v6
	v_addc_co_u32_e64 v29, s[0:1], v9, v1, s[0:1]
	v_lshlrev_b64 v[0:1], 4, v[3:4]
	v_mad_u64_u32 v[2:3], s[0:1], s3, v7, v[2:3]
	v_add_co_u32_e64 v30, s[0:1], v8, v0
	v_mov_b32_e32 v6, v2
	v_addc_co_u32_e64 v31, s[0:1], v9, v1, s[0:1]
	v_lshlrev_b64 v[0:1], 4, v[5:6]
	v_add_co_u32_e64 v32, s[0:1], v8, v0
	v_addc_co_u32_e64 v33, s[0:1], v9, v1, s[0:1]
	global_load_dwordx4 v[16:19], v[24:25], off
	global_load_dwordx4 v[12:15], v[26:27], off
	;; [unrolled: 1-line block ×5, first 2 shown]
.LBB0_13:
	s_or_b64 exec, exec, s[6:7]
	s_waitcnt vmcnt(1)
	v_add_f64 v[24:25], v[4:5], v[8:9]
	s_waitcnt vmcnt(0)
	v_add_f64 v[30:31], v[0:1], v[12:13]
	v_add_f64 v[32:33], v[12:13], v[16:17]
	v_add_f64 v[34:35], v[14:15], -v[2:3]
	v_add_f64 v[26:27], v[12:13], -v[8:9]
	;; [unrolled: 1-line block ×4, first 2 shown]
	s_mov_b32 s6, 0x134454ff
	v_fma_f64 v[24:25], v[24:25], -0.5, v[16:17]
	v_fma_f64 v[16:17], v[30:31], -0.5, v[16:17]
	s_mov_b32 s7, 0xbfee6f0e
	v_add_f64 v[32:33], v[8:9], v[32:33]
	s_mov_b32 s11, 0x3fee6f0e
	s_mov_b32 s10, s6
	v_add_f64 v[30:31], v[8:9], -v[12:13]
	v_add_f64 v[38:39], v[4:5], -v[0:1]
	v_fma_f64 v[42:43], v[34:35], s[6:7], v[24:25]
	v_add_f64 v[26:27], v[28:29], v[26:27]
	v_fma_f64 v[28:29], v[36:37], s[10:11], v[16:17]
	v_fma_f64 v[16:17], v[36:37], s[6:7], v[16:17]
	;; [unrolled: 1-line block ×3, first 2 shown]
	s_mov_b32 s2, 0x4755a5e
	s_mov_b32 s3, 0xbfe2cf23
	v_add_f64 v[32:33], v[4:5], v[32:33]
	v_fma_f64 v[42:43], v[36:37], s[2:3], v[42:43]
	s_mov_b32 s17, 0x3fe2cf23
	s_mov_b32 s16, s2
	v_add_f64 v[30:31], v[38:39], v[30:31]
	v_fma_f64 v[28:29], v[34:35], s[2:3], v[28:29]
	v_fma_f64 v[16:17], v[34:35], s[16:17], v[16:17]
	;; [unrolled: 1-line block ×3, first 2 shown]
	s_mov_b32 s12, 0x372fe950
	s_mov_b32 s13, 0x3fd3c6ef
	v_add_f64 v[32:33], v[0:1], v[32:33]
	v_fma_f64 v[35:36], v[26:27], s[12:13], v[42:43]
	v_mad_u32_u24 v34, v40, 40, 0
	v_fma_f64 v[28:29], v[30:31], s[12:13], v[28:29]
	v_fma_f64 v[16:17], v[30:31], s[12:13], v[16:17]
	;; [unrolled: 1-line block ×3, first 2 shown]
	v_lshlrev_b32_e32 v24, 5, v40
	ds_write2_b64 v34, v[32:33], v[35:36] offset1:1
	ds_write2_b64 v34, v[28:29], v[16:17] offset0:2 offset1:3
	v_sub_u32_e32 v30, v34, v24
	s_load_dwordx2 s[4:5], s[4:5], 0x0
	ds_write_b64 v34, v[26:27] offset:32
	s_waitcnt lgkmcnt(0)
	s_barrier
	v_sub_u32_e32 v32, 0, v24
	ds_read_b64 v[24:25], v30
	ds_read_b64 v[28:29], v30 offset:3240
	ds_read_b64 v[30:31], v30 offset:6480
	s_movk_i32 s0, 0xa2
	v_cmp_gt_u32_e64 s[0:1], s0, v40
	v_add_u32_e32 v42, v34, v32
	v_lshl_add_u32 v43, v41, 3, 0
                                        ; implicit-def: $vgpr32_vgpr33
	s_and_saveexec_b64 s[18:19], s[0:1]
	s_cbranch_execz .LBB0_15
; %bb.14:
	ds_read_b64 v[26:27], v42 offset:5184
	ds_read_b64 v[16:17], v43
	ds_read_b64 v[32:33], v42 offset:8424
.LBB0_15:
	s_or_b64 exec, exec, s[18:19]
	v_add_f64 v[35:36], v[6:7], v[10:11]
	v_add_f64 v[37:38], v[2:3], v[14:15]
	;; [unrolled: 1-line block ×3, first 2 shown]
	v_add_f64 v[0:1], v[12:13], -v[0:1]
	v_add_f64 v[4:5], v[8:9], -v[4:5]
	s_waitcnt lgkmcnt(0)
	s_barrier
	v_fma_f64 v[8:9], v[35:36], -0.5, v[18:19]
	v_fma_f64 v[12:13], v[37:38], -0.5, v[18:19]
	v_add_f64 v[18:19], v[14:15], -v[10:11]
	v_add_f64 v[35:36], v[2:3], -v[6:7]
	;; [unrolled: 1-line block ×3, first 2 shown]
	v_add_f64 v[10:11], v[10:11], v[44:45]
	v_add_f64 v[37:38], v[6:7], -v[2:3]
	v_fma_f64 v[44:45], v[0:1], s[10:11], v[8:9]
	v_fma_f64 v[46:47], v[4:5], s[6:7], v[12:13]
	;; [unrolled: 1-line block ×4, first 2 shown]
	v_add_f64 v[18:19], v[35:36], v[18:19]
	v_add_f64 v[6:7], v[6:7], v[10:11]
	;; [unrolled: 1-line block ×3, first 2 shown]
	v_fma_f64 v[10:11], v[4:5], s[16:17], v[44:45]
	v_fma_f64 v[35:36], v[0:1], s[16:17], v[46:47]
	;; [unrolled: 1-line block ×4, first 2 shown]
                                        ; implicit-def: $vgpr12_vgpr13
	v_add_f64 v[6:7], v[2:3], v[6:7]
	v_fma_f64 v[8:9], v[18:19], s[12:13], v[10:11]
	v_fma_f64 v[10:11], v[14:15], s[12:13], v[35:36]
	;; [unrolled: 1-line block ×4, first 2 shown]
	ds_write2_b64 v34, v[6:7], v[8:9] offset1:1
	ds_write2_b64 v34, v[10:11], v[0:1] offset0:2 offset1:3
	ds_write_b64 v34, v[2:3] offset:32
	s_waitcnt lgkmcnt(0)
	s_barrier
	ds_read_b64 v[4:5], v42
	ds_read_b64 v[8:9], v42 offset:3240
	ds_read_b64 v[10:11], v42 offset:6480
	s_and_saveexec_b64 s[2:3], s[0:1]
	s_cbranch_execz .LBB0_17
; %bb.16:
	ds_read_b64 v[2:3], v42 offset:5184
	ds_read_b64 v[0:1], v43
	ds_read_b64 v[12:13], v42 offset:8424
.LBB0_17:
	s_or_b64 exec, exec, s[2:3]
	s_movk_i32 s2, 0xcd
	v_mul_lo_u16_sdwa v6, v40, s2 dst_sel:DWORD dst_unused:UNUSED_PAD src0_sel:BYTE_0 src1_sel:DWORD
	v_lshrrev_b16_e32 v58, 10, v6
	v_mul_lo_u16_e32 v6, 5, v58
	v_sub_u16_e32 v59, v40, v6
	v_mov_b32_e32 v6, 5
	v_lshlrev_b32_sdwa v6, v6, v59 dst_sel:DWORD dst_unused:UNUSED_PAD src0_sel:DWORD src1_sel:BYTE_0
	s_mov_b32 s2, 0xcccd
	global_load_dwordx4 v[36:39], v6, s[8:9] offset:16
	global_load_dwordx4 v[44:47], v6, s[8:9]
	v_mul_u32_u24_sdwa v6, v41, s2 dst_sel:DWORD dst_unused:UNUSED_PAD src0_sel:WORD_0 src1_sel:DWORD
	v_lshrrev_b32_e32 v60, 18, v6
	v_mul_lo_u16_e32 v6, 5, v60
	v_sub_u16_e32 v61, v41, v6
	v_lshlrev_b32_e32 v6, 5, v61
	global_load_dwordx4 v[48:51], v6, s[8:9]
	global_load_dwordx4 v[52:55], v6, s[8:9] offset:16
	s_mov_b32 s2, 0xe8584caa
	s_mov_b32 s3, 0xbfebb67a
	;; [unrolled: 1-line block ×4, first 2 shown]
	s_waitcnt vmcnt(0) lgkmcnt(0)
	s_barrier
	v_mul_f64 v[14:15], v[10:11], v[38:39]
	v_mul_f64 v[6:7], v[8:9], v[46:47]
	;; [unrolled: 1-line block ×8, first 2 shown]
	v_fma_f64 v[18:19], v[28:29], v[44:45], v[6:7]
	v_fma_f64 v[28:29], v[30:31], v[36:37], v[14:15]
	v_fma_f64 v[30:31], v[10:11], v[36:37], -v[38:39]
	v_fma_f64 v[6:7], v[26:27], v[48:49], v[34:35]
	v_fma_f64 v[26:27], v[32:33], v[52:53], v[56:57]
	v_fma_f64 v[34:35], v[8:9], v[44:45], -v[46:47]
	v_fma_f64 v[36:37], v[2:3], v[48:49], -v[50:51]
	;; [unrolled: 1-line block ×3, first 2 shown]
	v_add_f64 v[2:3], v[18:19], v[28:29]
	v_add_f64 v[10:11], v[24:25], v[18:19]
	v_mov_b32_e32 v46, 3
	v_add_f64 v[14:15], v[16:17], v[6:7]
	v_add_f64 v[8:9], v[6:7], v[26:27]
	v_add_f64 v[12:13], v[34:35], -v[30:31]
	v_lshlrev_b32_sdwa v48, v46, v59 dst_sel:DWORD dst_unused:UNUSED_PAD src0_sel:DWORD src1_sel:BYTE_0
	v_add_f64 v[44:45], v[36:37], -v[32:33]
	v_fma_f64 v[38:39], v[2:3], -0.5, v[24:25]
	v_mul_u32_u24_e32 v25, 0x78, v58
	v_mul_lo_u16_e32 v24, 15, v60
	v_add_f64 v[2:3], v[14:15], v[26:27]
	v_fma_f64 v[8:9], v[8:9], -0.5, v[16:17]
	v_add_f64 v[16:17], v[10:11], v[28:29]
	v_fma_f64 v[14:15], v[12:13], s[2:3], v[38:39]
	v_fma_f64 v[46:47], v[12:13], s[6:7], v[38:39]
	v_add3_u32 v38, 0, v25, v48
	v_lshlrev_b32_e32 v25, 3, v61
	v_fma_f64 v[10:11], v[44:45], s[2:3], v[8:9]
	v_fma_f64 v[12:13], v[44:45], s[6:7], v[8:9]
	ds_write2_b64 v38, v[16:17], v[14:15] offset1:5
	ds_write_b64 v38, v[46:47] offset:80
	s_and_saveexec_b64 s[2:3], s[0:1]
	s_cbranch_execz .LBB0_19
; %bb.18:
	v_lshlrev_b32_e32 v8, 3, v24
	v_add3_u32 v8, 0, v25, v8
	ds_write2_b64 v8, v[2:3], v[10:11] offset1:5
	ds_write_b64 v8, v[12:13] offset:80
.LBB0_19:
	s_or_b64 exec, exec, s[2:3]
	s_waitcnt lgkmcnt(0)
	s_barrier
	ds_read_b64 v[8:9], v42
	ds_read_b64 v[14:15], v42 offset:3240
	ds_read_b64 v[16:17], v42 offset:6480
	s_and_saveexec_b64 s[2:3], s[0:1]
	s_cbranch_execz .LBB0_21
; %bb.20:
	ds_read_b64 v[10:11], v42 offset:5184
	ds_read_b64 v[2:3], v43
	ds_read_b64 v[12:13], v42 offset:8424
.LBB0_21:
	s_or_b64 exec, exec, s[2:3]
	v_add_f64 v[44:45], v[34:35], v[30:31]
	v_add_f64 v[46:47], v[36:37], v[32:33]
	;; [unrolled: 1-line block ×3, first 2 shown]
	v_add_f64 v[18:19], v[18:19], -v[28:29]
	v_add_f64 v[28:29], v[0:1], v[36:37]
	v_add_f64 v[6:7], v[6:7], -v[26:27]
	s_mov_b32 s2, 0xe8584caa
	s_mov_b32 s3, 0x3febb67a
	v_fma_f64 v[4:5], v[44:45], -0.5, v[4:5]
	v_fma_f64 v[26:27], v[46:47], -0.5, v[0:1]
	s_mov_b32 s7, 0xbfebb67a
	s_mov_b32 s6, s2
	v_add_f64 v[30:31], v[34:35], v[30:31]
	v_add_f64 v[0:1], v[28:29], v[32:33]
	s_waitcnt lgkmcnt(0)
	s_barrier
	v_fma_f64 v[28:29], v[18:19], s[2:3], v[4:5]
	v_fma_f64 v[32:33], v[18:19], s[6:7], v[4:5]
	;; [unrolled: 1-line block ×4, first 2 shown]
	ds_write2_b64 v38, v[30:31], v[28:29] offset1:5
	ds_write_b64 v38, v[32:33] offset:80
	s_and_saveexec_b64 s[2:3], s[0:1]
	s_cbranch_execz .LBB0_23
; %bb.22:
	v_lshlrev_b32_e32 v6, 3, v24
	v_add3_u32 v6, 0, v25, v6
	ds_write2_b64 v6, v[0:1], v[4:5] offset1:5
	ds_write_b64 v6, v[18:19] offset:80
.LBB0_23:
	s_or_b64 exec, exec, s[2:3]
	s_waitcnt lgkmcnt(0)
	s_barrier
	ds_read_b64 v[6:7], v42
	ds_read_b64 v[32:33], v42 offset:3240
	ds_read_b64 v[34:35], v42 offset:6480
	s_and_saveexec_b64 s[2:3], s[0:1]
	s_cbranch_execz .LBB0_25
; %bb.24:
	ds_read_b64 v[4:5], v42 offset:5184
	ds_read_b64 v[0:1], v43
	ds_read_b64 v[18:19], v42 offset:8424
.LBB0_25:
	s_or_b64 exec, exec, s[2:3]
	s_movk_i32 s2, 0x89
	v_mul_lo_u16_sdwa v24, v40, s2 dst_sel:DWORD dst_unused:UNUSED_PAD src0_sel:BYTE_0 src1_sel:DWORD
	v_lshrrev_b16_e32 v60, 11, v24
	v_mul_lo_u16_e32 v24, 15, v60
	v_sub_u16_e32 v61, v40, v24
	v_mov_b32_e32 v24, 5
	v_lshlrev_b32_sdwa v24, v24, v61 dst_sel:DWORD dst_unused:UNUSED_PAD src0_sel:DWORD src1_sel:BYTE_0
	s_mov_b32 s2, 0x8889
	global_load_dwordx4 v[44:47], v24, s[8:9] offset:176
	global_load_dwordx4 v[36:39], v24, s[8:9] offset:160
	v_mul_u32_u24_sdwa v24, v41, s2 dst_sel:DWORD dst_unused:UNUSED_PAD src0_sel:WORD_0 src1_sel:DWORD
	v_lshrrev_b32_e32 v62, 19, v24
	v_mul_lo_u16_e32 v24, 15, v62
	v_sub_u16_e32 v63, v41, v24
	v_lshlrev_b32_e32 v24, 5, v63
	global_load_dwordx4 v[48:51], v24, s[8:9] offset:160
	global_load_dwordx4 v[52:55], v24, s[8:9] offset:176
	s_mov_b32 s2, 0xe8584caa
	s_mov_b32 s3, 0xbfebb67a
	;; [unrolled: 1-line block ×4, first 2 shown]
	s_waitcnt vmcnt(0) lgkmcnt(0)
	s_barrier
	v_mul_f64 v[28:29], v[34:35], v[46:47]
	v_mul_f64 v[24:25], v[32:33], v[38:39]
	;; [unrolled: 1-line block ×8, first 2 shown]
	v_fma_f64 v[26:27], v[14:15], v[36:37], v[24:25]
	v_fma_f64 v[30:31], v[16:17], v[44:45], v[28:29]
	v_fma_f64 v[36:37], v[32:33], v[36:37], -v[38:39]
	v_fma_f64 v[32:33], v[34:35], v[44:45], -v[46:47]
	v_fma_f64 v[24:25], v[10:11], v[48:49], v[56:57]
	v_fma_f64 v[28:29], v[12:13], v[52:53], v[58:59]
	v_fma_f64 v[34:35], v[4:5], v[48:49], -v[50:51]
	v_fma_f64 v[18:19], v[18:19], v[52:53], -v[54:55]
	v_add_f64 v[12:13], v[8:9], v[26:27]
	v_add_f64 v[4:5], v[26:27], v[30:31]
	v_mov_b32_e32 v39, 3
	v_add_f64 v[14:15], v[36:37], -v[32:33]
	v_add_f64 v[16:17], v[2:3], v[24:25]
	v_add_f64 v[10:11], v[24:25], v[28:29]
	v_mul_u32_u24_e32 v48, 0x168, v60
	v_add_f64 v[44:45], v[34:35], -v[18:19]
	v_add_f64 v[46:47], v[12:13], v[30:31]
	v_fma_f64 v[8:9], v[4:5], -0.5, v[8:9]
	v_lshlrev_b32_sdwa v39, v39, v61 dst_sel:DWORD dst_unused:UNUSED_PAD src0_sel:DWORD src1_sel:BYTE_0
	v_mul_lo_u16_e32 v38, 45, v62
	v_add_f64 v[4:5], v[16:17], v[28:29]
	v_fma_f64 v[2:3], v[10:11], -0.5, v[2:3]
	v_fma_f64 v[16:17], v[14:15], s[2:3], v[8:9]
	v_fma_f64 v[8:9], v[14:15], s[6:7], v[8:9]
	;; [unrolled: 1-line block ×4, first 2 shown]
	v_add3_u32 v44, 0, v48, v39
	v_lshlrev_b32_e32 v39, 3, v63
	ds_write2_b64 v44, v[46:47], v[16:17] offset1:15
	ds_write_b64 v44, v[8:9] offset:240
	s_and_saveexec_b64 s[2:3], s[0:1]
	s_cbranch_execz .LBB0_27
; %bb.26:
	v_lshlrev_b32_e32 v2, 3, v38
	v_add3_u32 v2, 0, v39, v2
	ds_write2_b64 v2, v[4:5], v[10:11] offset1:15
	ds_write_b64 v2, v[12:13] offset:240
.LBB0_27:
	s_or_b64 exec, exec, s[2:3]
	s_waitcnt lgkmcnt(0)
	s_barrier
	ds_read_b64 v[8:9], v42
	ds_read_b64 v[14:15], v42 offset:3240
	ds_read_b64 v[16:17], v42 offset:6480
	s_and_saveexec_b64 s[2:3], s[0:1]
	s_cbranch_execz .LBB0_29
; %bb.28:
	ds_read_b64 v[10:11], v42 offset:5184
	ds_read_b64 v[4:5], v43
	ds_read_b64 v[12:13], v42 offset:8424
.LBB0_29:
	s_or_b64 exec, exec, s[2:3]
	v_add_f64 v[2:3], v[36:37], v[32:33]
	v_add_f64 v[45:46], v[34:35], v[18:19]
	;; [unrolled: 1-line block ×3, first 2 shown]
	v_add_f64 v[26:27], v[26:27], -v[30:31]
	v_add_f64 v[30:31], v[0:1], v[34:35]
	v_add_f64 v[24:25], v[24:25], -v[28:29]
	s_mov_b32 s2, 0xe8584caa
	s_mov_b32 s3, 0x3febb67a
	v_fma_f64 v[6:7], v[2:3], -0.5, v[6:7]
	v_fma_f64 v[0:1], v[45:46], -0.5, v[0:1]
	s_mov_b32 s7, 0xbfebb67a
	s_mov_b32 s6, s2
	v_add_f64 v[28:29], v[36:37], v[32:33]
	v_add_f64 v[2:3], v[30:31], v[18:19]
	s_waitcnt lgkmcnt(0)
	s_barrier
	v_fma_f64 v[30:31], v[26:27], s[2:3], v[6:7]
	v_fma_f64 v[18:19], v[24:25], s[2:3], v[0:1]
	;; [unrolled: 1-line block ×4, first 2 shown]
	ds_write2_b64 v44, v[28:29], v[30:31] offset1:15
	ds_write_b64 v44, v[6:7] offset:240
	s_and_saveexec_b64 s[2:3], s[0:1]
	s_cbranch_execz .LBB0_31
; %bb.30:
	v_lshlrev_b32_e32 v6, 3, v38
	v_add3_u32 v6, 0, v39, v6
	ds_write2_b64 v6, v[2:3], v[18:19] offset1:15
	ds_write_b64 v6, v[0:1] offset:240
.LBB0_31:
	s_or_b64 exec, exec, s[2:3]
	s_waitcnt lgkmcnt(0)
	s_barrier
	ds_read_b64 v[6:7], v42
	ds_read_b64 v[32:33], v42 offset:3240
	ds_read_b64 v[34:35], v42 offset:6480
	s_and_saveexec_b64 s[2:3], s[0:1]
	s_cbranch_execz .LBB0_33
; %bb.32:
	ds_read_b64 v[18:19], v42 offset:5184
	ds_read_b64 v[2:3], v43
	ds_read_b64 v[0:1], v42 offset:8424
.LBB0_33:
	s_or_b64 exec, exec, s[2:3]
	s_movk_i32 s2, 0x6d
	v_mul_lo_u16_sdwa v24, v40, s2 dst_sel:DWORD dst_unused:UNUSED_PAD src0_sel:BYTE_0 src1_sel:DWORD
	v_sub_u16_sdwa v25, v40, v24 dst_sel:DWORD dst_unused:UNUSED_PAD src0_sel:DWORD src1_sel:BYTE_1
	v_lshrrev_b16_e32 v25, 1, v25
	v_and_b32_e32 v25, 0x7f, v25
	v_add_u16_sdwa v24, v25, v24 dst_sel:DWORD dst_unused:UNUSED_PAD src0_sel:DWORD src1_sel:BYTE_1
	v_lshrrev_b16_e32 v61, 5, v24
	v_mul_lo_u16_e32 v24, 45, v61
	v_sub_u16_e32 v62, v40, v24
	v_mov_b32_e32 v24, 5
	v_lshlrev_b32_sdwa v24, v24, v62 dst_sel:DWORD dst_unused:UNUSED_PAD src0_sel:DWORD src1_sel:BYTE_0
	s_movk_i32 s2, 0x2d83
	global_load_dwordx4 v[45:48], v24, s[8:9] offset:656
	global_load_dwordx4 v[49:52], v24, s[8:9] offset:640
	v_mul_u32_u24_sdwa v24, v41, s2 dst_sel:DWORD dst_unused:UNUSED_PAD src0_sel:WORD_0 src1_sel:DWORD
	v_lshrrev_b32_e32 v44, 19, v24
	v_mul_lo_u16_e32 v24, 45, v44
	v_sub_u16_e32 v63, v41, v24
	v_lshlrev_b32_e32 v24, 5, v63
	global_load_dwordx4 v[36:39], v24, s[8:9] offset:640
	global_load_dwordx4 v[53:56], v24, s[8:9] offset:656
	s_mov_b32 s2, 0xe8584caa
	s_mov_b32 s3, 0xbfebb67a
	;; [unrolled: 1-line block ×4, first 2 shown]
	s_waitcnt vmcnt(0) lgkmcnt(0)
	s_barrier
	v_mul_f64 v[28:29], v[34:35], v[47:48]
	v_mul_f64 v[24:25], v[32:33], v[51:52]
	;; [unrolled: 1-line block ×8, first 2 shown]
	v_fma_f64 v[26:27], v[14:15], v[49:50], v[24:25]
	v_fma_f64 v[30:31], v[16:17], v[45:46], v[28:29]
	;; [unrolled: 1-line block ×4, first 2 shown]
	v_fma_f64 v[36:37], v[18:19], v[36:37], -v[38:39]
	v_fma_f64 v[38:39], v[32:33], v[49:50], -v[51:52]
	;; [unrolled: 1-line block ×3, first 2 shown]
	v_add_f64 v[10:11], v[26:27], v[30:31]
	v_fma_f64 v[32:33], v[0:1], v[53:54], -v[55:56]
	v_add_f64 v[14:15], v[8:9], v[26:27]
	v_add_f64 v[12:13], v[4:5], v[24:25]
	;; [unrolled: 1-line block ×3, first 2 shown]
	v_mov_b32_e32 v45, 3
	v_lshlrev_b32_sdwa v48, v45, v62 dst_sel:DWORD dst_unused:UNUSED_PAD src0_sel:DWORD src1_sel:BYTE_0
	v_add_f64 v[16:17], v[38:39], -v[18:19]
	v_fma_f64 v[8:9], v[10:11], -0.5, v[8:9]
	v_add_f64 v[34:35], v[36:37], -v[32:33]
	v_add_f64 v[14:15], v[14:15], v[30:31]
	v_mul_u32_u24_e32 v47, 0x438, v61
	v_fma_f64 v[4:5], v[0:1], -0.5, v[4:5]
	v_add_f64 v[0:1], v[12:13], v[28:29]
	v_fma_f64 v[45:46], v[16:17], s[2:3], v[8:9]
	v_fma_f64 v[16:17], v[16:17], s[6:7], v[8:9]
	v_add3_u32 v9, 0, v47, v48
	v_lshlrev_b32_e32 v8, 3, v63
	v_fma_f64 v[10:11], v[34:35], s[2:3], v[4:5]
	v_fma_f64 v[12:13], v[34:35], s[6:7], v[4:5]
	ds_write2_b64 v9, v[14:15], v[45:46] offset1:45
	ds_write_b64 v9, v[16:17] offset:720
	s_and_saveexec_b64 s[2:3], s[0:1]
	s_cbranch_execz .LBB0_35
; %bb.34:
	v_mul_lo_u16_e32 v4, 0x87, v44
	v_lshlrev_b32_e32 v4, 3, v4
	v_add3_u32 v4, 0, v8, v4
	ds_write2_b64 v4, v[0:1], v[10:11] offset1:45
	ds_write_b64 v4, v[12:13] offset:720
.LBB0_35:
	s_or_b64 exec, exec, s[2:3]
	s_waitcnt lgkmcnt(0)
	s_barrier
	ds_read_b64 v[4:5], v42
	ds_read_b64 v[14:15], v42 offset:3240
	ds_read_b64 v[16:17], v42 offset:6480
	s_and_saveexec_b64 s[2:3], s[0:1]
	s_cbranch_execz .LBB0_37
; %bb.36:
	ds_read_b64 v[10:11], v42 offset:5184
	ds_read_b64 v[0:1], v43
	ds_read_b64 v[12:13], v42 offset:8424
.LBB0_37:
	s_or_b64 exec, exec, s[2:3]
	v_add_f64 v[34:35], v[38:39], v[18:19]
	v_add_f64 v[45:46], v[36:37], v[32:33]
	v_add_f64 v[38:39], v[6:7], v[38:39]
	v_add_f64 v[26:27], v[26:27], -v[30:31]
	v_add_f64 v[30:31], v[2:3], v[36:37]
	v_add_f64 v[24:25], v[24:25], -v[28:29]
	s_mov_b32 s2, 0xe8584caa
	s_mov_b32 s3, 0x3febb67a
	v_fma_f64 v[28:29], v[34:35], -0.5, v[6:7]
	v_fma_f64 v[34:35], v[45:46], -0.5, v[2:3]
	s_mov_b32 s7, 0xbfebb67a
	s_mov_b32 s6, s2
	v_add_f64 v[36:37], v[38:39], v[18:19]
	v_add_f64 v[6:7], v[30:31], v[32:33]
	s_waitcnt lgkmcnt(0)
	s_barrier
	v_fma_f64 v[30:31], v[26:27], s[2:3], v[28:29]
	v_fma_f64 v[2:3], v[24:25], s[2:3], v[34:35]
	;; [unrolled: 1-line block ×4, first 2 shown]
	ds_write2_b64 v9, v[36:37], v[30:31] offset1:45
	ds_write_b64 v9, v[26:27] offset:720
	s_and_saveexec_b64 s[2:3], s[0:1]
	s_cbranch_execz .LBB0_39
; %bb.38:
	v_mul_lo_u16_e32 v9, 0x87, v44
	v_lshlrev_b32_e32 v9, 3, v9
	v_add3_u32 v8, 0, v8, v9
	ds_write2_b64 v8, v[6:7], v[2:3] offset1:45
	ds_write_b64 v8, v[18:19] offset:720
.LBB0_39:
	s_or_b64 exec, exec, s[2:3]
	s_waitcnt lgkmcnt(0)
	s_barrier
	ds_read_b64 v[8:9], v42
	ds_read_b64 v[24:25], v42 offset:3240
	ds_read_b64 v[26:27], v42 offset:6480
	s_and_saveexec_b64 s[2:3], s[0:1]
	s_cbranch_execz .LBB0_41
; %bb.40:
	ds_read_b64 v[2:3], v42 offset:5184
	ds_read_b64 v[6:7], v43
	ds_read_b64 v[18:19], v42 offset:8424
.LBB0_41:
	s_or_b64 exec, exec, s[2:3]
	s_movk_i32 s2, 0x87
	v_add_u32_e32 v28, 0xffffff79, v40
	v_cmp_gt_u32_e64 s[2:3], s2, v40
	v_cndmask_b32_e64 v39, v28, v40, s[2:3]
	v_lshlrev_b32_e32 v28, 1, v39
	v_mov_b32_e32 v29, 0
	v_lshlrev_b64 v[28:29], 4, v[28:29]
	v_mov_b32_e32 v30, s9
	v_add_co_u32_e64 v28, s[2:3], s8, v28
	v_addc_co_u32_e64 v29, s[2:3], v30, v29, s[2:3]
	s_movk_i32 s2, 0x795d
	global_load_dwordx4 v[44:47], v[28:29], off offset:2096
	global_load_dwordx4 v[48:51], v[28:29], off offset:2080
	v_mul_u32_u24_sdwa v28, v41, s2 dst_sel:DWORD dst_unused:UNUSED_PAD src0_sel:WORD_0 src1_sel:DWORD
	v_lshrrev_b32_e32 v36, 22, v28
	v_mul_lo_u16_e32 v28, 0x87, v36
	v_sub_u16_e32 v60, v41, v28
	v_lshlrev_b32_e32 v28, 5, v60
	global_load_dwordx4 v[52:55], v28, s[8:9] offset:2080
	global_load_dwordx4 v[56:59], v28, s[8:9] offset:2096
	s_mov_b32 s6, 0xe8584caa
	s_movk_i32 s2, 0x86
	s_mov_b32 s7, 0xbfebb67a
	s_mov_b32 s11, 0x3febb67a
	;; [unrolled: 1-line block ×3, first 2 shown]
	v_cmp_lt_u32_e64 s[2:3], s2, v40
	v_lshlrev_b32_e32 v39, 3, v39
	s_waitcnt vmcnt(0) lgkmcnt(0)
	s_barrier
	v_mul_f64 v[30:31], v[26:27], v[46:47]
	v_mul_f64 v[28:29], v[24:25], v[50:51]
	;; [unrolled: 1-line block ×8, first 2 shown]
	v_fma_f64 v[28:29], v[14:15], v[48:49], v[28:29]
	v_fma_f64 v[32:33], v[16:17], v[44:45], v[30:31]
	v_fma_f64 v[10:11], v[10:11], v[52:53], v[34:35]
	v_fma_f64 v[30:31], v[12:13], v[56:57], v[37:38]
	v_fma_f64 v[34:35], v[24:25], v[48:49], -v[50:51]
	v_fma_f64 v[24:25], v[26:27], v[44:45], -v[46:47]
	;; [unrolled: 1-line block ×3, first 2 shown]
	v_add_f64 v[2:3], v[28:29], v[32:33]
	v_fma_f64 v[18:19], v[18:19], v[56:57], -v[58:59]
	v_add_f64 v[14:15], v[4:5], v[28:29]
	v_add_f64 v[37:38], v[0:1], v[10:11]
	;; [unrolled: 1-line block ×3, first 2 shown]
	v_mov_b32_e32 v44, 0xca8
	v_add_f64 v[16:17], v[34:35], -v[24:25]
	v_cndmask_b32_e64 v46, 0, v44, s[2:3]
	v_fma_f64 v[2:3], v[2:3], -0.5, v[4:5]
	v_add_f64 v[4:5], v[26:27], -v[18:19]
	v_add_f64 v[14:15], v[14:15], v[32:33]
	v_fma_f64 v[12:13], v[12:13], -0.5, v[0:1]
	v_add_f64 v[0:1], v[37:38], v[30:31]
	v_add3_u32 v38, 0, v46, v39
	v_lshlrev_b32_e32 v37, 3, v60
	v_fma_f64 v[44:45], v[16:17], s[6:7], v[2:3]
	v_fma_f64 v[16:17], v[16:17], s[10:11], v[2:3]
	ds_write2_b64 v38, v[14:15], v[44:45] offset1:135
	ds_write_b64 v38, v[16:17] offset:2160
	v_fma_f64 v[2:3], v[4:5], s[6:7], v[12:13]
	v_fma_f64 v[4:5], v[4:5], s[10:11], v[12:13]
	s_and_saveexec_b64 s[2:3], s[0:1]
	s_cbranch_execz .LBB0_43
; %bb.42:
	v_mul_lo_u16_e32 v12, 0x195, v36
	v_lshlrev_b32_e32 v12, 3, v12
	v_add3_u32 v12, 0, v37, v12
	ds_write2_b64 v12, v[0:1], v[2:3] offset1:135
	ds_write_b64 v12, v[4:5] offset:2160
.LBB0_43:
	s_or_b64 exec, exec, s[2:3]
	s_waitcnt lgkmcnt(0)
	s_barrier
	ds_read_b64 v[12:13], v42
	ds_read_b64 v[14:15], v42 offset:3240
	ds_read_b64 v[16:17], v42 offset:6480
	s_and_saveexec_b64 s[2:3], s[0:1]
	s_cbranch_execz .LBB0_45
; %bb.44:
	ds_read_b64 v[2:3], v42 offset:5184
	ds_read_b64 v[0:1], v43
	ds_read_b64 v[4:5], v42 offset:8424
.LBB0_45:
	s_or_b64 exec, exec, s[2:3]
	v_add_f64 v[44:45], v[34:35], v[24:25]
	v_add_f64 v[46:47], v[26:27], v[18:19]
	;; [unrolled: 1-line block ×3, first 2 shown]
	v_add_f64 v[28:29], v[28:29], -v[32:33]
	v_add_f64 v[26:27], v[6:7], v[26:27]
	v_add_f64 v[10:11], v[10:11], -v[30:31]
	s_mov_b32 s2, 0xe8584caa
	s_mov_b32 s3, 0x3febb67a
	v_fma_f64 v[8:9], v[44:45], -0.5, v[8:9]
	v_fma_f64 v[30:31], v[46:47], -0.5, v[6:7]
	s_mov_b32 s7, 0xbfebb67a
	s_mov_b32 s6, s2
	v_add_f64 v[24:25], v[34:35], v[24:25]
	v_add_f64 v[6:7], v[26:27], v[18:19]
	s_waitcnt lgkmcnt(0)
	s_barrier
	v_fma_f64 v[18:19], v[28:29], s[2:3], v[8:9]
	v_fma_f64 v[26:27], v[28:29], s[6:7], v[8:9]
	;; [unrolled: 1-line block ×4, first 2 shown]
	ds_write2_b64 v38, v[24:25], v[18:19] offset1:135
	ds_write_b64 v38, v[26:27] offset:2160
	s_and_saveexec_b64 s[2:3], s[0:1]
	s_cbranch_execz .LBB0_47
; %bb.46:
	v_mul_lo_u16_e32 v18, 0x195, v36
	v_lshlrev_b32_e32 v18, 3, v18
	v_add3_u32 v18, 0, v37, v18
	ds_write2_b64 v18, v[6:7], v[8:9] offset1:135
	ds_write_b64 v18, v[10:11] offset:2160
.LBB0_47:
	s_or_b64 exec, exec, s[2:3]
	s_waitcnt lgkmcnt(0)
	s_barrier
	ds_read_b64 v[18:19], v42
	ds_read_b64 v[26:27], v42 offset:3240
	ds_read_b64 v[28:29], v42 offset:6480
	s_and_saveexec_b64 s[2:3], s[0:1]
	s_cbranch_execz .LBB0_49
; %bb.48:
	ds_read_b64 v[8:9], v42 offset:5184
	ds_read_b64 v[6:7], v43
	ds_read_b64 v[10:11], v42 offset:8424
.LBB0_49:
	s_or_b64 exec, exec, s[2:3]
	s_and_saveexec_b64 s[2:3], vcc
	s_cbranch_execz .LBB0_52
; %bb.50:
	v_lshlrev_b32_e32 v24, 1, v40
	v_mov_b32_e32 v25, 0
	v_lshlrev_b64 v[30:31], 4, v[24:25]
	v_mov_b32_e32 v24, s9
	v_add_co_u32_e32 v30, vcc, s8, v30
	v_addc_co_u32_e32 v24, vcc, v24, v31, vcc
	v_add_co_u32_e32 v38, vcc, 0x1900, v30
	v_addc_co_u32_e32 v39, vcc, 0, v24, vcc
	;; [unrolled: 2-line block ×3, first 2 shown]
	global_load_dwordx4 v[30:33], v[42:43], off offset:2304
	global_load_dwordx4 v[34:37], v[38:39], off offset:16
	v_mul_lo_u32 v38, s5, v22
	v_mul_lo_u32 v39, s4, v23
	v_mad_u64_u32 v[23:24], s[2:3], s4, v22, 0
	s_mov_b32 s4, 0x50e89cc3
	v_mul_hi_u32 v43, v40, s4
	v_add3_u32 v24, v24, v39, v38
	v_lshlrev_b64 v[23:24], 4, v[23:24]
	v_mov_b32_e32 v42, s15
	v_lshrrev_b32_e32 v38, 7, v43
	v_mul_u32_u24_e32 v38, 0x195, v38
	v_sub_u32_e32 v44, v40, v38
	v_add_co_u32_e32 v38, vcc, s14, v23
	v_addc_co_u32_e32 v39, vcc, v42, v24, vcc
	v_mad_u64_u32 v[23:24], s[10:11], s20, v44, 0
	v_add_u32_e32 v49, 0x195, v44
	v_add_u32_e32 v51, 0x32a, v44
	v_mad_u64_u32 v[44:45], s[10:11], s21, v44, v[24:25]
	v_lshlrev_b64 v[20:21], 4, v[20:21]
	v_mad_u64_u32 v[42:43], s[10:11], s20, v51, 0
	v_add_co_u32_e32 v20, vcc, v38, v20
	v_addc_co_u32_e32 v21, vcc, v39, v21, vcc
	v_mad_u64_u32 v[38:39], s[10:11], s20, v49, 0
	s_mov_b32 s2, 0xe8584caa
	s_mov_b32 s3, 0xbfebb67a
	v_mov_b32_e32 v24, v39
	v_mov_b32_e32 v39, v43
	v_mad_u64_u32 v[49:50], s[10:11], s21, v49, v[24:25]
	v_mov_b32_e32 v24, v44
	v_lshlrev_b64 v[23:24], 4, v[23:24]
	s_mov_b32 s5, 0x3febb67a
	s_mov_b32 s4, s2
	v_add_co_u32_e32 v23, vcc, v20, v23
	v_addc_co_u32_e32 v24, vcc, v21, v24, vcc
	s_movk_i32 s7, 0x195
	v_add_u32_e32 v22, 0xf3, v40
	s_movk_i32 s6, 0x1000
	s_waitcnt vmcnt(1)
	v_mul_f64 v[45:46], v[14:15], v[32:33]
	s_waitcnt vmcnt(0)
	v_mul_f64 v[47:48], v[16:17], v[36:37]
	s_waitcnt lgkmcnt(1)
	v_mul_f64 v[32:33], v[26:27], v[32:33]
	s_waitcnt lgkmcnt(0)
	v_mul_f64 v[36:37], v[28:29], v[36:37]
	v_fma_f64 v[26:27], v[26:27], v[30:31], -v[45:46]
	v_fma_f64 v[28:29], v[28:29], v[34:35], -v[47:48]
	v_fma_f64 v[14:15], v[14:15], v[30:31], v[32:33]
	v_fma_f64 v[16:17], v[16:17], v[34:35], v[36:37]
	v_mad_u64_u32 v[30:31], s[10:11], s21, v51, v[39:40]
	v_mov_b32_e32 v39, v49
	v_lshlrev_b64 v[34:35], 4, v[38:39]
	v_mov_b32_e32 v43, v30
	v_add_f64 v[30:31], v[26:27], v[28:29]
	v_lshlrev_b64 v[36:37], 4, v[42:43]
	v_add_f64 v[32:33], v[14:15], v[16:17]
	v_add_f64 v[42:43], v[18:19], v[26:27]
	;; [unrolled: 1-line block ×3, first 2 shown]
	v_add_f64 v[38:39], v[14:15], -v[16:17]
	v_add_f64 v[26:27], v[26:27], -v[28:29]
	v_fma_f64 v[30:31], v[30:31], -0.5, v[18:19]
	v_fma_f64 v[32:33], v[32:33], -0.5, v[12:13]
	v_add_f64 v[14:15], v[42:43], v[28:29]
	v_add_f64 v[12:13], v[44:45], v[16:17]
	v_fma_f64 v[28:29], v[38:39], s[4:5], v[30:31]
	v_fma_f64 v[18:19], v[38:39], s[2:3], v[30:31]
	;; [unrolled: 1-line block ×4, first 2 shown]
	v_add_co_u32_e32 v30, vcc, v20, v34
	v_addc_co_u32_e32 v31, vcc, v21, v35, vcc
	v_add_co_u32_e32 v32, vcc, v20, v36
	v_addc_co_u32_e32 v33, vcc, v21, v37, vcc
	v_cmp_gt_u32_e32 vcc, s7, v22
	global_store_dwordx4 v[23:24], v[12:15], off
	global_store_dwordx4 v[30:31], v[26:29], off
	global_store_dwordx4 v[32:33], v[16:19], off
	s_and_b64 exec, exec, vcc
	s_cbranch_execz .LBB0_52
; %bb.51:
	v_add_u32_e32 v12, 0xffffff5e, v40
	v_cndmask_b32_e64 v12, v12, v41, s[0:1]
	v_lshlrev_b32_e32 v24, 1, v12
	v_lshlrev_b64 v[12:13], 4, v[24:25]
	v_mov_b32_e32 v14, s9
	v_add_co_u32_e32 v12, vcc, s8, v12
	v_addc_co_u32_e32 v17, vcc, v14, v13, vcc
	v_add_co_u32_e32 v16, vcc, 0x1900, v12
	s_mov_b64 s[0:1], vcc
	v_add_co_u32_e32 v12, vcc, s6, v12
	v_addc_co_u32_e32 v13, vcc, 0, v17, vcc
	v_addc_co_u32_e64 v17, vcc, 0, v17, s[0:1]
	global_load_dwordx4 v[12:15], v[12:13], off offset:2304
	v_add_u32_e32 v34, 0x288, v40
	global_load_dwordx4 v[16:19], v[16:17], off offset:16
	v_mad_u64_u32 v[23:24], s[0:1], s20, v22, 0
	v_mad_u64_u32 v[25:26], s[0:1], s20, v34, 0
	v_add_u32_e32 v36, 0x41d, v40
	v_mad_u64_u32 v[27:28], s[0:1], s20, v36, 0
	v_mad_u64_u32 v[29:30], s[0:1], s21, v22, v[24:25]
	v_mov_b32_e32 v22, v26
	v_mov_b32_e32 v24, v28
	v_mad_u64_u32 v[34:35], s[0:1], s21, v34, v[22:23]
	v_mov_b32_e32 v26, v34
	s_waitcnt vmcnt(1)
	v_mul_f64 v[30:31], v[8:9], v[14:15]
	v_mul_f64 v[14:15], v[2:3], v[14:15]
	s_waitcnt vmcnt(0)
	v_mul_f64 v[32:33], v[10:11], v[18:19]
	v_mul_f64 v[18:19], v[4:5], v[18:19]
	v_fma_f64 v[2:3], v[2:3], v[12:13], v[30:31]
	v_fma_f64 v[8:9], v[8:9], v[12:13], -v[14:15]
	v_fma_f64 v[4:5], v[4:5], v[16:17], v[32:33]
	v_fma_f64 v[10:11], v[10:11], v[16:17], -v[18:19]
	v_mad_u64_u32 v[12:13], s[0:1], s21, v36, v[24:25]
	v_mov_b32_e32 v24, v29
	v_lshlrev_b64 v[13:14], 4, v[23:24]
	v_mov_b32_e32 v28, v12
	v_lshlrev_b64 v[22:23], 4, v[25:26]
	v_add_f64 v[15:16], v[2:3], v[4:5]
	v_add_f64 v[17:18], v[8:9], v[10:11]
	v_lshlrev_b64 v[24:25], 4, v[27:28]
	v_add_f64 v[26:27], v[0:1], v[2:3]
	v_add_f64 v[28:29], v[8:9], -v[10:11]
	v_add_f64 v[8:9], v[6:7], v[8:9]
	v_add_f64 v[30:31], v[2:3], -v[4:5]
	v_add_co_u32_e32 v12, vcc, v20, v13
	v_fma_f64 v[15:16], v[15:16], -0.5, v[0:1]
	v_fma_f64 v[17:18], v[17:18], -0.5, v[6:7]
	v_add_f64 v[0:1], v[26:27], v[4:5]
	v_addc_co_u32_e32 v13, vcc, v21, v14, vcc
	v_add_f64 v[2:3], v[8:9], v[10:11]
	v_add_co_u32_e32 v14, vcc, v20, v22
	v_fma_f64 v[4:5], v[28:29], s[2:3], v[15:16]
	v_fma_f64 v[6:7], v[30:31], s[4:5], v[17:18]
	;; [unrolled: 1-line block ×4, first 2 shown]
	v_addc_co_u32_e32 v15, vcc, v21, v23, vcc
	v_add_co_u32_e32 v16, vcc, v20, v24
	v_addc_co_u32_e32 v17, vcc, v21, v25, vcc
	global_store_dwordx4 v[12:13], v[0:3], off
	global_store_dwordx4 v[14:15], v[4:7], off
	global_store_dwordx4 v[16:17], v[8:11], off
.LBB0_52:
	s_endpgm
	.section	.rodata,"a",@progbits
	.p2align	6, 0x0
	.amdhsa_kernel fft_rtc_back_len1215_factors_5_3_3_3_3_3_wgs_243_tpt_243_halfLds_dp_op_CI_CI_sbrr_dirReg
		.amdhsa_group_segment_fixed_size 0
		.amdhsa_private_segment_fixed_size 0
		.amdhsa_kernarg_size 104
		.amdhsa_user_sgpr_count 6
		.amdhsa_user_sgpr_private_segment_buffer 1
		.amdhsa_user_sgpr_dispatch_ptr 0
		.amdhsa_user_sgpr_queue_ptr 0
		.amdhsa_user_sgpr_kernarg_segment_ptr 1
		.amdhsa_user_sgpr_dispatch_id 0
		.amdhsa_user_sgpr_flat_scratch_init 0
		.amdhsa_user_sgpr_private_segment_size 0
		.amdhsa_uses_dynamic_stack 0
		.amdhsa_system_sgpr_private_segment_wavefront_offset 0
		.amdhsa_system_sgpr_workgroup_id_x 1
		.amdhsa_system_sgpr_workgroup_id_y 0
		.amdhsa_system_sgpr_workgroup_id_z 0
		.amdhsa_system_sgpr_workgroup_info 0
		.amdhsa_system_vgpr_workitem_id 0
		.amdhsa_next_free_vgpr 64
		.amdhsa_next_free_sgpr 32
		.amdhsa_reserve_vcc 1
		.amdhsa_reserve_flat_scratch 0
		.amdhsa_float_round_mode_32 0
		.amdhsa_float_round_mode_16_64 0
		.amdhsa_float_denorm_mode_32 3
		.amdhsa_float_denorm_mode_16_64 3
		.amdhsa_dx10_clamp 1
		.amdhsa_ieee_mode 1
		.amdhsa_fp16_overflow 0
		.amdhsa_exception_fp_ieee_invalid_op 0
		.amdhsa_exception_fp_denorm_src 0
		.amdhsa_exception_fp_ieee_div_zero 0
		.amdhsa_exception_fp_ieee_overflow 0
		.amdhsa_exception_fp_ieee_underflow 0
		.amdhsa_exception_fp_ieee_inexact 0
		.amdhsa_exception_int_div_zero 0
	.end_amdhsa_kernel
	.text
.Lfunc_end0:
	.size	fft_rtc_back_len1215_factors_5_3_3_3_3_3_wgs_243_tpt_243_halfLds_dp_op_CI_CI_sbrr_dirReg, .Lfunc_end0-fft_rtc_back_len1215_factors_5_3_3_3_3_3_wgs_243_tpt_243_halfLds_dp_op_CI_CI_sbrr_dirReg
                                        ; -- End function
	.section	.AMDGPU.csdata,"",@progbits
; Kernel info:
; codeLenInByte = 6732
; NumSgprs: 36
; NumVgprs: 64
; ScratchSize: 0
; MemoryBound: 1
; FloatMode: 240
; IeeeMode: 1
; LDSByteSize: 0 bytes/workgroup (compile time only)
; SGPRBlocks: 4
; VGPRBlocks: 15
; NumSGPRsForWavesPerEU: 36
; NumVGPRsForWavesPerEU: 64
; Occupancy: 4
; WaveLimiterHint : 1
; COMPUTE_PGM_RSRC2:SCRATCH_EN: 0
; COMPUTE_PGM_RSRC2:USER_SGPR: 6
; COMPUTE_PGM_RSRC2:TRAP_HANDLER: 0
; COMPUTE_PGM_RSRC2:TGID_X_EN: 1
; COMPUTE_PGM_RSRC2:TGID_Y_EN: 0
; COMPUTE_PGM_RSRC2:TGID_Z_EN: 0
; COMPUTE_PGM_RSRC2:TIDIG_COMP_CNT: 0
	.type	__hip_cuid_6e3e77912acef69e,@object ; @__hip_cuid_6e3e77912acef69e
	.section	.bss,"aw",@nobits
	.globl	__hip_cuid_6e3e77912acef69e
__hip_cuid_6e3e77912acef69e:
	.byte	0                               ; 0x0
	.size	__hip_cuid_6e3e77912acef69e, 1

	.ident	"AMD clang version 19.0.0git (https://github.com/RadeonOpenCompute/llvm-project roc-6.4.0 25133 c7fe45cf4b819c5991fe208aaa96edf142730f1d)"
	.section	".note.GNU-stack","",@progbits
	.addrsig
	.addrsig_sym __hip_cuid_6e3e77912acef69e
	.amdgpu_metadata
---
amdhsa.kernels:
  - .args:
      - .actual_access:  read_only
        .address_space:  global
        .offset:         0
        .size:           8
        .value_kind:     global_buffer
      - .offset:         8
        .size:           8
        .value_kind:     by_value
      - .actual_access:  read_only
        .address_space:  global
        .offset:         16
        .size:           8
        .value_kind:     global_buffer
      - .actual_access:  read_only
        .address_space:  global
        .offset:         24
        .size:           8
        .value_kind:     global_buffer
      - .actual_access:  read_only
        .address_space:  global
        .offset:         32
        .size:           8
        .value_kind:     global_buffer
      - .offset:         40
        .size:           8
        .value_kind:     by_value
      - .actual_access:  read_only
        .address_space:  global
        .offset:         48
        .size:           8
        .value_kind:     global_buffer
      - .actual_access:  read_only
        .address_space:  global
        .offset:         56
        .size:           8
        .value_kind:     global_buffer
      - .offset:         64
        .size:           4
        .value_kind:     by_value
      - .actual_access:  read_only
        .address_space:  global
        .offset:         72
        .size:           8
        .value_kind:     global_buffer
      - .actual_access:  read_only
        .address_space:  global
        .offset:         80
        .size:           8
        .value_kind:     global_buffer
      - .actual_access:  read_only
        .address_space:  global
        .offset:         88
        .size:           8
        .value_kind:     global_buffer
      - .actual_access:  write_only
        .address_space:  global
        .offset:         96
        .size:           8
        .value_kind:     global_buffer
    .group_segment_fixed_size: 0
    .kernarg_segment_align: 8
    .kernarg_segment_size: 104
    .language:       OpenCL C
    .language_version:
      - 2
      - 0
    .max_flat_workgroup_size: 243
    .name:           fft_rtc_back_len1215_factors_5_3_3_3_3_3_wgs_243_tpt_243_halfLds_dp_op_CI_CI_sbrr_dirReg
    .private_segment_fixed_size: 0
    .sgpr_count:     36
    .sgpr_spill_count: 0
    .symbol:         fft_rtc_back_len1215_factors_5_3_3_3_3_3_wgs_243_tpt_243_halfLds_dp_op_CI_CI_sbrr_dirReg.kd
    .uniform_work_group_size: 1
    .uses_dynamic_stack: false
    .vgpr_count:     64
    .vgpr_spill_count: 0
    .wavefront_size: 64
amdhsa.target:   amdgcn-amd-amdhsa--gfx906
amdhsa.version:
  - 1
  - 2
...

	.end_amdgpu_metadata
